;; amdgpu-corpus repo=ROCm/rocFFT kind=compiled arch=gfx1030 opt=O3
	.text
	.amdgcn_target "amdgcn-amd-amdhsa--gfx1030"
	.amdhsa_code_object_version 6
	.protected	fft_rtc_fwd_len780_factors_2_3_13_5_2_wgs_234_tpt_78_halfLds_half_ip_CI_sbrr_dirReg ; -- Begin function fft_rtc_fwd_len780_factors_2_3_13_5_2_wgs_234_tpt_78_halfLds_half_ip_CI_sbrr_dirReg
	.globl	fft_rtc_fwd_len780_factors_2_3_13_5_2_wgs_234_tpt_78_halfLds_half_ip_CI_sbrr_dirReg
	.p2align	8
	.type	fft_rtc_fwd_len780_factors_2_3_13_5_2_wgs_234_tpt_78_halfLds_half_ip_CI_sbrr_dirReg,@function
fft_rtc_fwd_len780_factors_2_3_13_5_2_wgs_234_tpt_78_halfLds_half_ip_CI_sbrr_dirReg: ; @fft_rtc_fwd_len780_factors_2_3_13_5_2_wgs_234_tpt_78_halfLds_half_ip_CI_sbrr_dirReg
; %bb.0:
	s_clause 0x1
	s_load_dwordx2 s[14:15], s[4:5], 0x18
	s_load_dwordx4 s[8:11], s[4:5], 0x0
	v_mul_u32_u24_e32 v1, 0x349, v0
	v_mov_b32_e32 v5, 0
	v_mov_b32_e32 v3, 0
	v_mov_b32_e32 v4, 0
	s_load_dwordx2 s[12:13], s[4:5], 0x50
	s_waitcnt lgkmcnt(0)
	s_load_dwordx2 s[2:3], s[14:15], 0x0
	v_lshrrev_b32_e32 v1, 16, v1
	v_cmp_lt_u64_e64 s0, s[10:11], 2
	v_mad_u64_u32 v[1:2], null, s6, 3, v[1:2]
	v_mov_b32_e32 v2, v5
	s_and_b32 vcc_lo, exec_lo, s0
	v_mov_b32_e32 v10, v2
	v_mov_b32_e32 v9, v1
	s_cbranch_vccnz .LBB0_8
; %bb.1:
	s_load_dwordx2 s[0:1], s[4:5], 0x10
	v_mov_b32_e32 v3, 0
	v_mov_b32_e32 v8, v2
	s_add_u32 s6, s14, 8
	v_mov_b32_e32 v4, 0
	v_mov_b32_e32 v7, v1
	s_addc_u32 s7, s15, 0
	s_mov_b64 s[18:19], 1
	s_waitcnt lgkmcnt(0)
	s_add_u32 s16, s0, 8
	s_addc_u32 s17, s1, 0
.LBB0_2:                                ; =>This Inner Loop Header: Depth=1
	s_load_dwordx2 s[20:21], s[16:17], 0x0
                                        ; implicit-def: $vgpr9_vgpr10
	s_mov_b32 s0, exec_lo
	s_waitcnt lgkmcnt(0)
	v_or_b32_e32 v6, s21, v8
	v_cmpx_ne_u64_e32 0, v[5:6]
	s_xor_b32 s1, exec_lo, s0
	s_cbranch_execz .LBB0_4
; %bb.3:                                ;   in Loop: Header=BB0_2 Depth=1
	v_cvt_f32_u32_e32 v2, s20
	v_cvt_f32_u32_e32 v6, s21
	s_sub_u32 s0, 0, s20
	s_subb_u32 s22, 0, s21
	v_fmac_f32_e32 v2, 0x4f800000, v6
	v_rcp_f32_e32 v2, v2
	v_mul_f32_e32 v2, 0x5f7ffffc, v2
	v_mul_f32_e32 v6, 0x2f800000, v2
	v_trunc_f32_e32 v6, v6
	v_fmac_f32_e32 v2, 0xcf800000, v6
	v_cvt_u32_f32_e32 v6, v6
	v_cvt_u32_f32_e32 v2, v2
	v_mul_lo_u32 v9, s0, v6
	v_mul_hi_u32 v10, s0, v2
	v_mul_lo_u32 v11, s22, v2
	v_add_nc_u32_e32 v9, v10, v9
	v_mul_lo_u32 v10, s0, v2
	v_add_nc_u32_e32 v9, v9, v11
	v_mul_hi_u32 v11, v2, v10
	v_mul_lo_u32 v12, v2, v9
	v_mul_hi_u32 v13, v2, v9
	v_mul_hi_u32 v14, v6, v10
	v_mul_lo_u32 v10, v6, v10
	v_mul_hi_u32 v15, v6, v9
	v_mul_lo_u32 v9, v6, v9
	v_add_co_u32 v11, vcc_lo, v11, v12
	v_add_co_ci_u32_e32 v12, vcc_lo, 0, v13, vcc_lo
	v_add_co_u32 v10, vcc_lo, v11, v10
	v_add_co_ci_u32_e32 v10, vcc_lo, v12, v14, vcc_lo
	v_add_co_ci_u32_e32 v11, vcc_lo, 0, v15, vcc_lo
	v_add_co_u32 v9, vcc_lo, v10, v9
	v_add_co_ci_u32_e32 v10, vcc_lo, 0, v11, vcc_lo
	v_add_co_u32 v2, vcc_lo, v2, v9
	v_add_co_ci_u32_e32 v6, vcc_lo, v6, v10, vcc_lo
	v_mul_hi_u32 v9, s0, v2
	v_mul_lo_u32 v11, s22, v2
	v_mul_lo_u32 v10, s0, v6
	v_add_nc_u32_e32 v9, v9, v10
	v_mul_lo_u32 v10, s0, v2
	v_add_nc_u32_e32 v9, v9, v11
	v_mul_hi_u32 v11, v2, v10
	v_mul_lo_u32 v12, v2, v9
	v_mul_hi_u32 v13, v2, v9
	v_mul_hi_u32 v14, v6, v10
	v_mul_lo_u32 v10, v6, v10
	v_mul_hi_u32 v15, v6, v9
	v_mul_lo_u32 v9, v6, v9
	v_add_co_u32 v11, vcc_lo, v11, v12
	v_add_co_ci_u32_e32 v12, vcc_lo, 0, v13, vcc_lo
	v_add_co_u32 v10, vcc_lo, v11, v10
	v_add_co_ci_u32_e32 v10, vcc_lo, v12, v14, vcc_lo
	v_add_co_ci_u32_e32 v11, vcc_lo, 0, v15, vcc_lo
	v_add_co_u32 v9, vcc_lo, v10, v9
	v_add_co_ci_u32_e32 v10, vcc_lo, 0, v11, vcc_lo
	v_add_co_u32 v2, vcc_lo, v2, v9
	v_add_co_ci_u32_e32 v6, vcc_lo, v6, v10, vcc_lo
	v_mul_hi_u32 v15, v7, v2
	v_mad_u64_u32 v[11:12], null, v8, v2, 0
	v_mad_u64_u32 v[9:10], null, v7, v6, 0
	v_mad_u64_u32 v[13:14], null, v8, v6, 0
	v_add_co_u32 v2, vcc_lo, v15, v9
	v_add_co_ci_u32_e32 v6, vcc_lo, 0, v10, vcc_lo
	v_add_co_u32 v2, vcc_lo, v2, v11
	v_add_co_ci_u32_e32 v2, vcc_lo, v6, v12, vcc_lo
	v_add_co_ci_u32_e32 v6, vcc_lo, 0, v14, vcc_lo
	v_add_co_u32 v2, vcc_lo, v2, v13
	v_add_co_ci_u32_e32 v6, vcc_lo, 0, v6, vcc_lo
	v_mul_lo_u32 v11, s21, v2
	v_mad_u64_u32 v[9:10], null, s20, v2, 0
	v_mul_lo_u32 v12, s20, v6
	v_sub_co_u32 v9, vcc_lo, v7, v9
	v_add3_u32 v10, v10, v12, v11
	v_sub_nc_u32_e32 v11, v8, v10
	v_subrev_co_ci_u32_e64 v11, s0, s21, v11, vcc_lo
	v_add_co_u32 v12, s0, v2, 2
	v_add_co_ci_u32_e64 v13, s0, 0, v6, s0
	v_sub_co_u32 v14, s0, v9, s20
	v_sub_co_ci_u32_e32 v10, vcc_lo, v8, v10, vcc_lo
	v_subrev_co_ci_u32_e64 v11, s0, 0, v11, s0
	v_cmp_le_u32_e32 vcc_lo, s20, v14
	v_cmp_eq_u32_e64 s0, s21, v10
	v_cndmask_b32_e64 v14, 0, -1, vcc_lo
	v_cmp_le_u32_e32 vcc_lo, s21, v11
	v_cndmask_b32_e64 v15, 0, -1, vcc_lo
	v_cmp_le_u32_e32 vcc_lo, s20, v9
	;; [unrolled: 2-line block ×3, first 2 shown]
	v_cndmask_b32_e64 v16, 0, -1, vcc_lo
	v_cmp_eq_u32_e32 vcc_lo, s21, v11
	v_cndmask_b32_e64 v9, v16, v9, s0
	v_cndmask_b32_e32 v11, v15, v14, vcc_lo
	v_add_co_u32 v14, vcc_lo, v2, 1
	v_add_co_ci_u32_e32 v15, vcc_lo, 0, v6, vcc_lo
	v_cmp_ne_u32_e32 vcc_lo, 0, v11
	v_cndmask_b32_e32 v10, v15, v13, vcc_lo
	v_cndmask_b32_e32 v11, v14, v12, vcc_lo
	v_cmp_ne_u32_e32 vcc_lo, 0, v9
	v_cndmask_b32_e32 v10, v6, v10, vcc_lo
	v_cndmask_b32_e32 v9, v2, v11, vcc_lo
.LBB0_4:                                ;   in Loop: Header=BB0_2 Depth=1
	s_andn2_saveexec_b32 s0, s1
	s_cbranch_execz .LBB0_6
; %bb.5:                                ;   in Loop: Header=BB0_2 Depth=1
	v_cvt_f32_u32_e32 v2, s20
	s_sub_i32 s1, 0, s20
	v_rcp_iflag_f32_e32 v2, v2
	v_mul_f32_e32 v2, 0x4f7ffffe, v2
	v_cvt_u32_f32_e32 v2, v2
	v_mul_lo_u32 v6, s1, v2
	v_mul_hi_u32 v6, v2, v6
	v_add_nc_u32_e32 v2, v2, v6
	v_mul_hi_u32 v2, v7, v2
	v_mul_lo_u32 v6, v2, s20
	v_add_nc_u32_e32 v9, 1, v2
	v_sub_nc_u32_e32 v6, v7, v6
	v_subrev_nc_u32_e32 v10, s20, v6
	v_cmp_le_u32_e32 vcc_lo, s20, v6
	v_cndmask_b32_e32 v6, v6, v10, vcc_lo
	v_cndmask_b32_e32 v2, v2, v9, vcc_lo
	v_mov_b32_e32 v10, v5
	v_cmp_le_u32_e32 vcc_lo, s20, v6
	v_add_nc_u32_e32 v9, 1, v2
	v_cndmask_b32_e32 v9, v2, v9, vcc_lo
.LBB0_6:                                ;   in Loop: Header=BB0_2 Depth=1
	s_or_b32 exec_lo, exec_lo, s0
	s_load_dwordx2 s[0:1], s[6:7], 0x0
	v_mul_lo_u32 v2, v10, s20
	v_mul_lo_u32 v6, v9, s21
	v_mad_u64_u32 v[11:12], null, v9, s20, 0
	s_add_u32 s18, s18, 1
	s_addc_u32 s19, s19, 0
	s_add_u32 s6, s6, 8
	s_addc_u32 s7, s7, 0
	s_add_u32 s16, s16, 8
	s_addc_u32 s17, s17, 0
	v_add3_u32 v2, v12, v6, v2
	v_sub_co_u32 v6, vcc_lo, v7, v11
	v_sub_co_ci_u32_e32 v2, vcc_lo, v8, v2, vcc_lo
	s_waitcnt lgkmcnt(0)
	v_mul_lo_u32 v7, s1, v6
	v_mul_lo_u32 v2, s0, v2
	v_mad_u64_u32 v[3:4], null, s0, v6, v[3:4]
	v_cmp_ge_u64_e64 s0, s[18:19], s[10:11]
	s_and_b32 vcc_lo, exec_lo, s0
	v_add3_u32 v4, v7, v4, v2
	s_cbranch_vccnz .LBB0_8
; %bb.7:                                ;   in Loop: Header=BB0_2 Depth=1
	v_mov_b32_e32 v7, v9
	v_mov_b32_e32 v8, v10
	s_branch .LBB0_2
.LBB0_8:
	s_lshl_b64 s[0:1], s[10:11], 3
	v_mul_hi_u32 v2, 0x3483484, v0
	s_add_u32 s0, s14, s0
	s_addc_u32 s1, s15, s1
	s_load_dwordx2 s[4:5], s[4:5], 0x20
	s_load_dwordx2 s[0:1], s[0:1], 0x0
                                        ; implicit-def: $vgpr7
	v_mul_u32_u24_e32 v2, 0x4e, v2
	v_sub_nc_u32_e32 v0, v0, v2
	v_add_nc_u32_e32 v15, 0x4e, v0
	v_add_nc_u32_e32 v12, 0x9c, v0
	v_add_nc_u32_e32 v13, 0xea, v0
	v_add_nc_u32_e32 v14, 0x138, v0
	s_waitcnt lgkmcnt(0)
	v_cmp_gt_u64_e32 vcc_lo, s[4:5], v[9:10]
	v_mul_lo_u32 v5, s0, v10
	v_mul_lo_u32 v6, s1, v9
	v_mad_u64_u32 v[2:3], null, s0, v9, v[3:4]
	v_cmp_le_u64_e64 s0, s[4:5], v[9:10]
                                        ; implicit-def: $sgpr4
                                        ; implicit-def: $vgpr4
                                        ; implicit-def: $vgpr9
	v_add3_u32 v3, v6, v3, v5
                                        ; implicit-def: $vgpr6
	s_and_saveexec_b32 s1, s0
	s_xor_b32 s0, exec_lo, s1
; %bb.9:
	v_add_nc_u32_e32 v6, 0x4e, v0
	v_add_nc_u32_e32 v4, 0x9c, v0
	;; [unrolled: 1-line block ×4, first 2 shown]
	s_mov_b32 s4, 0
; %bb.10:
	s_or_saveexec_b32 s1, s0
	v_lshlrev_b64 v[2:3], 2, v[2:3]
	v_mov_b32_e32 v8, s4
	v_add_nc_u32_e32 v17, 0x186, v0
	v_add_nc_u32_e32 v16, 0x1d4, v0
	v_mov_b32_e32 v35, s4
	v_mov_b32_e32 v32, s4
	;; [unrolled: 1-line block ×4, first 2 shown]
                                        ; implicit-def: $vgpr36
                                        ; implicit-def: $vgpr5
                                        ; implicit-def: $vgpr37
                                        ; implicit-def: $vgpr10
                                        ; implicit-def: $vgpr38
                                        ; implicit-def: $vgpr11
                                        ; implicit-def: $vgpr39
                                        ; implicit-def: $vgpr18
                                        ; implicit-def: $vgpr40
                                        ; implicit-def: $vgpr19
	s_xor_b32 exec_lo, exec_lo, s1
	s_cbranch_execz .LBB0_12
; %bb.11:
	v_mad_u64_u32 v[4:5], null, s2, v0, 0
	v_mad_u64_u32 v[6:7], null, s2, v17, 0
	v_add_co_u32 v37, s0, s12, v2
	v_add_co_ci_u32_e64 v38, s0, s13, v3, s0
	v_mad_u64_u32 v[18:19], null, s2, v16, 0
	v_mad_u64_u32 v[8:9], null, s3, v0, v[5:6]
	v_mov_b32_e32 v5, v7
	v_mad_u64_u32 v[9:10], null, s2, v15, 0
	v_mad_u64_u32 v[23:24], null, s2, v12, 0
	;; [unrolled: 1-line block ×3, first 2 shown]
	v_mov_b32_e32 v5, v8
	v_add_nc_u32_e32 v26, 0x222, v0
	v_mov_b32_e32 v8, v10
	v_mov_b32_e32 v10, v19
	v_add_nc_u32_e32 v27, 0x270, v0
	v_lshlrev_b64 v[4:5], 2, v[4:5]
	v_mov_b32_e32 v7, v20
	v_mad_u64_u32 v[20:21], null, s3, v15, v[8:9]
	v_mad_u64_u32 v[10:11], null, s3, v16, v[10:11]
	v_lshlrev_b64 v[6:7], 2, v[6:7]
	v_add_co_u32 v21, s0, v37, v4
	v_add_co_ci_u32_e64 v22, s0, v38, v5, s0
	v_mov_b32_e32 v8, v24
	v_add_co_u32 v4, s0, v37, v6
	v_add_co_ci_u32_e64 v5, s0, v38, v7, s0
	v_mov_b32_e32 v19, v10
	v_mov_b32_e32 v10, v20
	v_mad_u64_u32 v[6:7], null, s2, v26, 0
	global_load_dword v5, v[4:5], off
	v_lshlrev_b64 v[18:19], 2, v[18:19]
	v_mad_u64_u32 v[24:25], null, s3, v12, v[8:9]
	v_lshlrev_b64 v[8:9], 2, v[9:10]
	v_add_co_u32 v10, s0, v37, v18
	v_add_co_ci_u32_e64 v11, s0, v38, v19, s0
	v_add_co_u32 v25, s0, v37, v8
	global_load_dword v10, v[10:11], off
	v_mov_b32_e32 v4, v7
	v_add_nc_u32_e32 v11, 0x2be, v0
	v_mad_u64_u32 v[30:31], null, s2, v11, 0
	s_waitcnt vmcnt(1)
	v_mad_u64_u32 v[18:19], null, s3, v26, v[4:5]
	v_mad_u64_u32 v[19:20], null, s2, v27, 0
	v_add_co_ci_u32_e64 v26, s0, v38, v9, s0
	v_lshlrev_b64 v[8:9], 2, v[23:24]
	v_mad_u64_u32 v[23:24], null, s2, v13, 0
	v_mov_b32_e32 v7, v18
	v_mov_b32_e32 v4, v20
	v_add_co_u32 v32, s0, v37, v8
	v_mov_b32_e32 v8, v31
	v_mad_u64_u32 v[27:28], null, s3, v27, v[4:5]
	v_mad_u64_u32 v[28:29], null, s2, v14, 0
	v_add_co_ci_u32_e64 v33, s0, v38, v9, s0
	v_mad_u64_u32 v[8:9], null, s3, v11, v[8:9]
	v_mov_b32_e32 v20, v27
	v_lshlrev_b64 v[6:7], 2, v[6:7]
	v_mov_b32_e32 v4, v24
	v_lshlrev_b64 v[18:19], 2, v[19:20]
	v_mov_b32_e32 v31, v8
	v_mad_u64_u32 v[34:35], null, s3, v13, v[4:5]
	v_mov_b32_e32 v4, v29
	v_add_co_u32 v6, s0, v37, v6
	v_add_co_ci_u32_e64 v7, s0, v38, v7, s0
	v_add_co_u32 v8, s0, v37, v18
	v_mad_u64_u32 v[35:36], null, s3, v14, v[4:5]
	v_add_co_ci_u32_e64 v9, s0, v38, v19, s0
	v_lshlrev_b64 v[19:20], 2, v[30:31]
	v_mov_b32_e32 v24, v34
	s_clause 0x1
	global_load_dword v11, v[6:7], off
	global_load_dword v18, v[8:9], off
	v_mov_b32_e32 v29, v35
	v_mov_b32_e32 v4, v12
	v_add_co_u32 v19, s0, v37, v19
	v_add_co_ci_u32_e64 v20, s0, v38, v20, s0
	v_lshrrev_b32_e32 v36, 16, v5
	global_load_dword v19, v[19:20], off
	v_lshlrev_b64 v[8:9], 2, v[28:29]
	v_lshlrev_b64 v[6:7], 2, v[23:24]
	v_add_co_u32 v23, s0, v37, v8
	v_add_co_ci_u32_e64 v24, s0, v38, v9, s0
	v_add_co_u32 v6, s0, v37, v6
	v_add_co_ci_u32_e64 v7, s0, v38, v7, s0
	s_clause 0x4
	global_load_dword v8, v[21:22], off
	global_load_dword v35, v[25:26], off
	;; [unrolled: 1-line block ×5, first 2 shown]
	v_mov_b32_e32 v9, v14
	v_mov_b32_e32 v7, v13
	s_waitcnt vmcnt(8)
	v_lshrrev_b32_e32 v37, 16, v10
	v_mov_b32_e32 v6, v15
	s_waitcnt vmcnt(7)
	v_lshrrev_b32_e32 v38, 16, v11
	s_waitcnt vmcnt(6)
	v_lshrrev_b32_e32 v39, 16, v18
	;; [unrolled: 2-line block ×3, first 2 shown]
.LBB0_12:
	s_or_b32 exec_lo, exec_lo, s1
	v_mul_hi_u32 v20, 0xaaaaaaab, v1
	s_waitcnt vmcnt(4)
	v_sub_f16_e32 v5, v8, v5
	s_waitcnt vmcnt(3)
	v_sub_f16_e32 v21, v35, v10
	;; [unrolled: 2-line block ×3, first 2 shown]
	v_sub_f16_e32 v11, v32, v11
	v_sub_f16_e32 v10, v28, v19
	v_fma_f16 v23, v8, 2.0, -v5
	v_lshlrev_b32_e32 v19, 1, v0
	v_lshrrev_b32_e32 v20, 1, v20
	v_fma_f16 v24, v35, 2.0, -v21
	v_fma_f16 v26, v34, 2.0, -v18
	v_pack_b32_f16 v5, v23, v5
	v_fma_f16 v25, v32, 2.0, -v11
	v_lshl_add_u32 v20, v20, 1, v20
	v_lshl_add_u32 v47, v7, 2, 0
	v_fma_f16 v27, v28, 2.0, -v10
	v_lshlrev_b32_e32 v22, 1, v4
	v_pack_b32_f16 v21, v24, v21
	v_sub_nc_u32_e32 v1, v1, v20
	v_lshlrev_b32_e32 v20, 1, v6
	v_pack_b32_f16 v24, v26, v18
	v_pack_b32_f16 v11, v25, v11
	;; [unrolled: 1-line block ×3, first 2 shown]
	v_mul_u32_u24_e32 v46, 0x30c, v1
	v_cmp_gt_u32_e64 s1, 26, v0
                                        ; implicit-def: $vgpr30
                                        ; implicit-def: $vgpr33
	v_lshlrev_b32_e32 v1, 1, v46
	v_add_nc_u32_e32 v23, 0, v1
	v_add_nc_u32_e32 v41, v47, v1
	v_lshl_add_u32 v43, v0, 2, v23
	v_lshl_add_u32 v45, v4, 2, v23
	;; [unrolled: 1-line block ×3, first 2 shown]
	v_add_nc_u32_e32 v18, v23, v19
	v_lshl_add_u32 v42, v9, 2, v23
	v_sub_nc_u32_e32 v19, v43, v19
	ds_write_b32 v43, v5
	ds_write_b32 v44, v21
	;; [unrolled: 1-line block ×5, first 2 shown]
	v_sub_nc_u32_e32 v21, v45, v22
	s_waitcnt lgkmcnt(0)
	s_barrier
	buffer_gl0_inv
	v_sub_nc_u32_e32 v20, v44, v20
	ds_read_u16 v24, v18
	ds_read_u16 v26, v19 offset:520
	ds_read_u16 v25, v19 offset:676
	;; [unrolled: 1-line block ×3, first 2 shown]
	ds_read_u16 v23, v21
	ds_read_u16 v27, v20
	ds_read_u16 v22, v19 offset:1352
	ds_read_u16 v31, v19 offset:1040
	ds_read_u16 v29, v19 offset:832
	v_lshlrev_b32_e32 v5, 1, v7
	s_and_saveexec_b32 s0, s1
	s_cbranch_execz .LBB0_14
; %bb.13:
	v_sub_nc_u32_e32 v10, v47, v5
	v_lshl_add_u32 v10, v46, 1, v10
	ds_read_u16 v33, v19 offset:988
	ds_read_u16 v10, v10
	ds_read_u16 v30, v19 offset:1508
.LBB0_14:
	s_or_b32 exec_lo, exec_lo, s0
	v_lshrrev_b32_e32 v8, 16, v8
	v_lshrrev_b32_e32 v35, 16, v35
	;; [unrolled: 1-line block ×5, first 2 shown]
	v_sub_f16_e32 v36, v8, v36
	v_sub_f16_e32 v37, v35, v37
	;; [unrolled: 1-line block ×5, first 2 shown]
	v_fma_f16 v8, v8, 2.0, -v36
	v_fma_f16 v35, v35, 2.0, -v37
	v_fma_f16 v32, v32, 2.0, -v38
	v_fma_f16 v40, v46, 2.0, -v39
	v_fma_f16 v28, v28, 2.0, -v34
	v_pack_b32_f16 v8, v8, v36
	v_pack_b32_f16 v35, v35, v37
	;; [unrolled: 1-line block ×5, first 2 shown]
	s_waitcnt lgkmcnt(0)
	s_barrier
	buffer_gl0_inv
	ds_write_b32 v43, v8
	ds_write_b32 v44, v35
	;; [unrolled: 1-line block ×5, first 2 shown]
	s_waitcnt lgkmcnt(0)
	s_barrier
	buffer_gl0_inv
	ds_read_u16 v28, v18
	ds_read_u16 v39, v19 offset:520
	ds_read_u16 v38, v19 offset:676
	;; [unrolled: 1-line block ×3, first 2 shown]
	ds_read_u16 v35, v21
	ds_read_u16 v32, v20
	ds_read_u16 v37, v19 offset:1352
	ds_read_u16 v53, v19 offset:1040
	;; [unrolled: 1-line block ×3, first 2 shown]
                                        ; implicit-def: $vgpr42
                                        ; implicit-def: $vgpr47
	s_and_saveexec_b32 s0, s1
	s_cbranch_execz .LBB0_16
; %bb.15:
	v_add3_u32 v8, 0, v5, v1
	ds_read_u16 v47, v19 offset:988
	ds_read_u16 v34, v8
	ds_read_u16 v42, v19 offset:1508
.LBB0_16:
	s_or_b32 exec_lo, exec_lo, s0
	v_and_b32_e32 v8, 1, v0
	v_lshrrev_b32_e32 v44, 1, v0
	v_lshrrev_b32_e32 v43, 1, v4
	v_lshlrev_b32_e32 v41, 3, v8
	v_mul_u32_u24_e32 v44, 6, v44
	v_mul_lo_u32 v43, v43, 6
	global_load_dwordx2 v[59:60], v41, s[8:9]
	v_lshrrev_b32_e32 v41, 1, v6
	v_or_b32_e32 v44, v44, v8
	s_waitcnt vmcnt(0) lgkmcnt(0)
	s_barrier
	v_or_b32_e32 v43, v43, v8
	v_mul_lo_u32 v41, v41, 6
	v_lshlrev_b32_e32 v44, 1, v44
	buffer_gl0_inv
	v_lshlrev_b32_e32 v43, 1, v43
	v_or_b32_e32 v45, v41, v8
	v_lshrrev_b32_e32 v41, 1, v7
	v_add3_u32 v43, 0, v43, v1
	v_lshlrev_b32_e32 v46, 1, v45
	v_add3_u32 v45, 0, v44, v1
	v_add3_u32 v44, 0, v46, v1
	v_mul_f16_sdwa v56, v39, v59 dst_sel:DWORD dst_unused:UNUSED_PAD src0_sel:DWORD src1_sel:WORD_1
	v_mul_f16_sdwa v58, v53, v60 dst_sel:DWORD dst_unused:UNUSED_PAD src0_sel:DWORD src1_sel:WORD_1
	;; [unrolled: 1-line block ×16, first 2 shown]
	v_fma_f16 v57, v26, v59, -v56
	v_fma_f16 v58, v31, v60, -v58
	v_fmac_f16_e32 v48, v53, v60
	v_fma_f16 v26, v25, v59, -v61
	v_fma_f16 v53, v11, v60, -v62
	;; [unrolled: 1-line block ×6, first 2 shown]
	v_fmac_f16_e32 v55, v39, v59
	v_fmac_f16_e32 v54, v38, v59
	v_fmac_f16_e32 v52, v36, v60
	v_fmac_f16_e32 v50, v40, v59
	v_fmac_f16_e32 v46, v37, v60
	v_fmac_f16_e32 v51, v47, v59
	v_fmac_f16_e32 v49, v42, v60
	v_add_f16_e32 v31, v57, v58
	v_add_f16_e32 v37, v26, v53
	;; [unrolled: 1-line block ×5, first 2 shown]
	v_sub_f16_e32 v33, v55, v48
	v_add_f16_e32 v36, v27, v26
	v_sub_f16_e32 v38, v54, v52
	v_add_f16_e32 v39, v23, v11
	;; [unrolled: 2-line block ×3, first 2 shown]
	v_sub_f16_e32 v59, v51, v49
	v_fmac_f16_e32 v24, -0.5, v31
	v_fmac_f16_e32 v27, -0.5, v37
	;; [unrolled: 1-line block ×4, first 2 shown]
	v_add_f16_e32 v22, v22, v58
	v_add_f16_e32 v31, v36, v53
	;; [unrolled: 1-line block ×4, first 2 shown]
	v_fmamk_f16 v42, v33, 0x3aee, v24
	v_fmac_f16_e32 v24, 0xbaee, v33
	v_fmamk_f16 v40, v38, 0x3aee, v27
	v_fmac_f16_e32 v27, 0xbaee, v38
	;; [unrolled: 2-line block ×4, first 2 shown]
	ds_write_b16 v45, v22
	ds_write_b16 v45, v42 offset:4
	ds_write_b16 v45, v24 offset:8
	ds_write_b16 v44, v31
	ds_write_b16 v44, v40 offset:4
	ds_write_b16 v44, v27 offset:8
	;; [unrolled: 3-line block ×3, first 2 shown]
	s_and_saveexec_b32 s0, s1
	s_cbranch_execz .LBB0_18
; %bb.17:
	v_mul_lo_u32 v33, v41, 6
	v_or_b32_e32 v33, v33, v8
	v_lshlrev_b32_e32 v33, 1, v33
	v_add3_u32 v33, 0, v33, v1
	ds_write_b16 v33, v36
	ds_write_b16 v33, v38 offset:4
	ds_write_b16 v33, v10 offset:8
.LBB0_18:
	s_or_b32 exec_lo, exec_lo, s0
	v_cmp_gt_u32_e64 s0, 60, v0
	s_waitcnt lgkmcnt(0)
	s_barrier
	buffer_gl0_inv
                                        ; implicit-def: $vgpr56
	s_and_saveexec_b32 s4, s0
	s_cbranch_execz .LBB0_20
; %bb.19:
	ds_read_u16 v22, v18
	ds_read_u16 v42, v19 offset:120
	ds_read_u16 v24, v19 offset:240
	;; [unrolled: 1-line block ×12, first 2 shown]
.LBB0_20:
	s_or_b32 exec_lo, exec_lo, s4
	v_add_f16_e32 v33, v55, v48
	v_add_f16_e32 v47, v28, v55
	v_sub_f16_e32 v55, v57, v58
	v_add_f16_e32 v57, v54, v52
	v_sub_f16_e32 v53, v26, v53
	v_fmac_f16_e32 v28, -0.5, v33
	v_add_f16_e32 v33, v32, v54
	v_add_f16_e32 v26, v47, v48
	v_fmac_f16_e32 v32, -0.5, v57
	v_sub_f16_e32 v11, v11, v29
	v_add_f16_e32 v29, v34, v51
	v_add_f16_e32 v48, v33, v52
	;; [unrolled: 1-line block ×5, first 2 shown]
	v_sub_f16_e32 v25, v25, v30
	v_fmamk_f16 v47, v55, 0xbaee, v28
	v_fmac_f16_e32 v35, -0.5, v33
	v_fmac_f16_e32 v34, -0.5, v52
	v_fmac_f16_e32 v28, 0x3aee, v55
	v_fmamk_f16 v54, v53, 0xbaee, v32
	v_fmac_f16_e32 v32, 0x3aee, v53
	v_add_f16_e32 v60, v50, v46
	v_fmamk_f16 v59, v11, 0xbaee, v35
	v_fmac_f16_e32 v35, 0x3aee, v11
	v_add_f16_e32 v57, v29, v49
	v_fmamk_f16 v58, v25, 0xbaee, v34
	v_fmac_f16_e32 v34, 0x3aee, v25
	s_waitcnt lgkmcnt(0)
	s_barrier
	buffer_gl0_inv
	ds_write_b16 v45, v26
	ds_write_b16 v45, v47 offset:4
	ds_write_b16 v45, v28 offset:8
	ds_write_b16 v44, v48
	ds_write_b16 v44, v54 offset:4
	ds_write_b16 v44, v32 offset:8
	ds_write_b16 v43, v60
	ds_write_b16 v43, v59 offset:4
	ds_write_b16 v43, v35 offset:8
	s_and_saveexec_b32 s4, s1
	s_cbranch_execz .LBB0_22
; %bb.21:
	v_mul_lo_u32 v11, v41, 6
	v_or_b32_e32 v8, v11, v8
	v_lshlrev_b32_e32 v8, 1, v8
	v_add3_u32 v8, 0, v8, v1
	ds_write_b16 v8, v57
	ds_write_b16 v8, v58 offset:4
	ds_write_b16 v8, v34 offset:8
.LBB0_22:
	s_or_b32 exec_lo, exec_lo, s4
	s_waitcnt lgkmcnt(0)
	s_barrier
	buffer_gl0_inv
                                        ; implicit-def: $vgpr61
	s_and_saveexec_b32 s1, s0
	s_cbranch_execz .LBB0_24
; %bb.23:
	ds_read_u16 v26, v18
	ds_read_u16 v47, v19 offset:120
	ds_read_u16 v28, v19 offset:240
	;; [unrolled: 1-line block ×12, first 2 shown]
.LBB0_24:
	s_or_b32 exec_lo, exec_lo, s1
	v_and_b32_e32 v8, 0xff, v0
	v_mov_b32_e32 v11, 12
	v_mul_lo_u16 v8, 0xab, v8
	v_lshrrev_b16 v74, 10, v8
	v_mul_lo_u16 v8, v74, 6
	v_sub_nc_u16 v8, v0, v8
	v_mul_u32_u24_sdwa v11, v8, v11 dst_sel:DWORD dst_unused:UNUSED_PAD src0_sel:BYTE_0 src1_sel:DWORD
	v_lshlrev_b32_e32 v11, 2, v11
	s_clause 0x2
	global_load_dwordx4 v[62:65], v11, s[8:9] offset:16
	global_load_dwordx4 v[66:69], v11, s[8:9] offset:32
	;; [unrolled: 1-line block ×3, first 2 shown]
	s_waitcnt vmcnt(0) lgkmcnt(0)
	s_barrier
	buffer_gl0_inv
	v_mul_f16_sdwa v43, v47, v62 dst_sel:DWORD dst_unused:UNUSED_PAD src0_sel:DWORD src1_sel:WORD_1
	v_mul_f16_sdwa v52, v42, v62 dst_sel:DWORD dst_unused:UNUSED_PAD src0_sel:DWORD src1_sel:WORD_1
	;; [unrolled: 1-line block ×24, first 2 shown]
	v_fma_f16 v55, v42, v62, -v43
	v_fmac_f16_e32 v52, v47, v62
	v_fma_f16 v53, v24, v63, -v44
	v_fmac_f16_e32 v51, v28, v63
	;; [unrolled: 2-line block ×12, first 2 shown]
	v_and_b32_e32 v10, 0xffff, v74
	s_and_saveexec_b32 s1, s0
	s_cbranch_execz .LBB0_26
; %bb.25:
	v_sub_f16_e32 v34, v52, v50
	v_add_f16_e32 v24, v55, v56
	v_sub_f16_e32 v36, v51, v49
	v_add_f16_e32 v35, v53, v54
	v_sub_f16_e32 v38, v45, v46
	v_mul_f16_e32 v60, 0xb3a8, v34
	v_add_f16_e32 v37, v47, v48
	v_mul_f16_e32 v61, 0x3770, v36
	v_sub_f16_e32 v40, v33, v41
	v_sub_f16_e32 v57, v29, v30
	v_fmamk_f16 v68, v24, 0xbbc4, v60
	v_fma_f16 v60, v24, 0xbbc4, -v60
	v_mul_f16_e32 v62, 0xb94e, v38
	v_fmamk_f16 v70, v35, 0x3b15, v61
	v_fma_f16 v61, v35, 0x3b15, -v61
	v_add_f16_e32 v68, v22, v68
	v_add_f16_e32 v60, v22, v60
	;; [unrolled: 1-line block ×4, first 2 shown]
	v_mul_f16_e32 v63, 0x3a95, v40
	v_mul_f16_e32 v64, 0xbb7b, v57
	;; [unrolled: 1-line block ×3, first 2 shown]
	v_fmamk_f16 v71, v37, 0xb9fd, v62
	v_add_f16_e32 v68, v70, v68
	v_fma_f16 v62, v37, 0xb9fd, -v62
	v_add_f16_e32 v60, v61, v60
	v_sub_f16_e32 v59, v11, v25
	v_mul_f16_e32 v67, 0x3bf1, v36
	v_fmamk_f16 v72, v39, 0x388b, v63
	v_fmamk_f16 v70, v42, 0xb5ac, v64
	v_add_f16_e32 v68, v71, v68
	v_fma_f16 v63, v39, 0x388b, -v63
	v_add_f16_e32 v60, v62, v60
	v_fma_f16 v62, v42, 0xb5ac, -v64
	v_fmamk_f16 v64, v24, 0xb9fd, v66
	v_add_f16_e32 v58, v27, v28
	v_mul_f16_e32 v65, 0x3bf1, v59
	v_mul_f16_e32 v69, 0xba95, v38
	v_add_f16_e32 v68, v72, v68
	v_add_f16_e32 v60, v63, v60
	v_fmamk_f16 v63, v35, 0x2fb7, v67
	v_add_f16_e32 v64, v22, v64
	v_fmamk_f16 v61, v58, 0x2fb7, v65
	v_add_f16_e32 v68, v70, v68
	v_add_f16_e32 v60, v62, v60
	v_fma_f16 v62, v24, 0xb9fd, -v66
	v_add_f16_e32 v63, v63, v64
	v_fmamk_f16 v64, v37, 0x388b, v69
	v_mul_f16_e32 v66, 0x33a8, v40
	v_add_f16_e32 v61, v61, v68
	v_fma_f16 v65, v58, 0x2fb7, -v65
	v_add_f16_e32 v62, v22, v62
	v_fma_f16 v67, v35, 0x2fb7, -v67
	v_add_f16_e32 v63, v64, v63
	v_fmamk_f16 v64, v39, 0xbbc4, v66
	v_mul_f16_e32 v68, 0x3770, v57
	v_add_f16_e32 v60, v65, v60
	v_add_f16_e32 v62, v67, v62
	v_fma_f16 v65, v37, 0x388b, -v69
	v_add_f16_e32 v63, v64, v63
	v_fmamk_f16 v64, v42, 0x3b15, v68
	v_mul_f16_e32 v67, 0xbb7b, v34
	v_mul_f16_e32 v69, 0xbb7b, v59
	v_add_f16_e32 v62, v65, v62
	v_fma_f16 v65, v39, 0xbbc4, -v66
	v_add_f16_e32 v63, v64, v63
	v_fmamk_f16 v64, v24, 0xb5ac, v67
	v_mul_f16_e32 v66, 0x394e, v36
	v_mul_f16_e32 v71, 0x3770, v38
	v_add_f16_e32 v62, v65, v62
	v_fma_f16 v65, v42, 0x3b15, -v68
	v_add_f16_e32 v64, v22, v64
	v_fmamk_f16 v68, v35, 0xb9fd, v66
	v_fmamk_f16 v70, v58, 0xb5ac, v69
	v_fma_f16 v69, v58, 0xb5ac, -v69
	v_add_f16_e32 v62, v65, v62
	v_fma_f16 v65, v24, 0xb5ac, -v67
	v_add_f16_e32 v64, v68, v64
	v_fmamk_f16 v67, v37, 0x3b15, v71
	v_mul_f16_e32 v68, 0xbbf1, v40
	v_add_f16_e32 v63, v70, v63
	v_add_f16_e32 v65, v22, v65
	v_fma_f16 v66, v35, 0xb9fd, -v66
	v_add_f16_e32 v64, v67, v64
	v_fmamk_f16 v67, v39, 0x2fb7, v68
	v_mul_f16_e32 v70, 0x33a8, v57
	v_add_f16_e32 v62, v69, v62
	v_add_f16_e32 v65, v66, v65
	v_fma_f16 v66, v37, 0x3b15, -v71
	v_add_f16_e32 v64, v67, v64
	v_fmamk_f16 v67, v42, 0xbbc4, v70
	v_mul_f16_e32 v69, 0x3a95, v59
	v_mul_f16_e32 v71, 0xbbf1, v34
	v_add_f16_e32 v65, v66, v65
	v_fma_f16 v66, v39, 0x2fb7, -v68
	v_add_f16_e32 v64, v67, v64
	v_fmamk_f16 v67, v58, 0x388b, v69
	v_fmamk_f16 v68, v24, 0x2fb7, v71
	v_mul_f16_e32 v72, 0xb3a8, v36
	v_add_f16_e32 v23, v22, v55
	v_add_f16_e32 v65, v66, v65
	v_fma_f16 v66, v42, 0xbbc4, -v70
	v_add_f16_e32 v64, v67, v64
	v_add_f16_e32 v67, v22, v68
	v_fmamk_f16 v68, v35, 0xbbc4, v72
	v_mul_f16_e32 v70, 0x3b7b, v38
	v_add_f16_e32 v23, v23, v53
	v_add_f16_e32 v65, v66, v65
	v_fma_f16 v66, v58, 0x388b, -v69
	v_fma_f16 v69, v24, 0x2fb7, -v71
	v_add_f16_e32 v67, v68, v67
	v_fmamk_f16 v68, v37, 0xb5ac, v70
	v_mul_f16_e32 v71, 0x3770, v40
	v_add_f16_e32 v23, v23, v47
	v_mul_f16_e32 v73, 0xba95, v57
	v_add_f16_e32 v65, v66, v65
	v_add_f16_e32 v67, v68, v67
	v_fmamk_f16 v68, v39, 0x3b15, v71
	v_add_f16_e32 v23, v23, v43
	v_add_f16_e32 v66, v22, v69
	v_fma_f16 v69, v35, 0xbbc4, -v72
	v_mul_f16_e32 v72, 0xba95, v34
	v_add_f16_e32 v67, v68, v67
	v_fmamk_f16 v74, v42, 0x388b, v73
	v_mul_f16_e32 v76, 0xb94e, v59
	v_add_f16_e32 v23, v23, v31
	v_add_f16_e32 v66, v69, v66
	v_fma_f16 v69, v37, 0xb5ac, -v70
	v_fmamk_f16 v68, v24, 0x388b, v72
	v_mul_f16_e32 v70, 0xbb7b, v36
	v_add_f16_e32 v67, v74, v67
	v_fmamk_f16 v74, v58, 0xb9fd, v76
	v_fma_f16 v72, v24, 0x388b, -v72
	v_mul_f16_e32 v34, 0xb770, v34
	v_add_f16_e32 v23, v23, v27
	v_add_f16_e32 v66, v69, v66
	v_fma_f16 v69, v39, 0x3b15, -v71
	v_add_f16_e32 v68, v22, v68
	v_fmamk_f16 v71, v35, 0xb5ac, v70
	v_mul_f16_e32 v75, 0xb3a8, v38
	v_add_f16_e32 v67, v74, v67
	v_add_f16_e32 v72, v22, v72
	v_fma_f16 v70, v35, 0xb5ac, -v70
	v_fmamk_f16 v74, v24, 0x3b15, v34
	v_mul_f16_e32 v36, 0xba95, v36
	v_fma_f16 v24, v24, 0x3b15, -v34
	v_add_f16_e32 v23, v23, v28
	v_add_f16_e32 v66, v69, v66
	v_fma_f16 v69, v42, 0x388b, -v73
	v_add_f16_e32 v68, v71, v68
	v_fmamk_f16 v71, v37, 0xbbc4, v75
	v_mul_f16_e32 v73, 0x394e, v40
	v_add_f16_e32 v70, v70, v72
	v_fma_f16 v34, v37, 0xbbc4, -v75
	v_add_f16_e32 v72, v22, v74
	v_fmamk_f16 v74, v35, 0x388b, v36
	v_mul_f16_e32 v38, 0xbbf1, v38
	v_add_f16_e32 v22, v22, v24
	v_fma_f16 v24, v35, 0x388b, -v36
	v_add_f16_e32 v23, v23, v32
	v_add_f16_e32 v68, v71, v68
	v_mul_f16_e32 v71, 0x3bf1, v57
	v_add_f16_e32 v34, v34, v70
	v_fma_f16 v35, v39, 0xb9fd, -v73
	v_add_f16_e32 v36, v74, v72
	v_fmamk_f16 v70, v37, 0x2fb7, v38
	v_add_f16_e32 v22, v24, v22
	v_fma_f16 v24, v37, 0x2fb7, -v38
	v_mul_f16_e32 v37, 0xbb7b, v40
	v_add_f16_e32 v66, v69, v66
	v_fmamk_f16 v69, v39, 0xb9fd, v73
	v_add_f16_e32 v23, v23, v44
	v_add_f16_e32 v34, v35, v34
	v_fma_f16 v35, v42, 0x2fb7, -v71
	v_add_f16_e32 v36, v70, v36
	v_add_f16_e32 v22, v24, v22
	v_fma_f16 v24, v39, 0xb5ac, -v37
	v_mul_f16_e32 v38, 0xb94e, v57
	v_fmamk_f16 v37, v39, 0xb5ac, v37
	v_add_f16_e32 v68, v69, v68
	v_fmamk_f16 v69, v42, 0x2fb7, v71
	v_add_f16_e32 v23, v23, v48
	v_add_f16_e32 v34, v35, v34
	;; [unrolled: 1-line block ×3, first 2 shown]
	v_fma_f16 v24, v42, 0xb9fd, -v38
	v_add_f16_e32 v35, v37, v36
	v_mov_b32_e32 v36, 1
	v_mul_f16_e32 v37, 0xb3a8, v59
	v_add_f16_e32 v68, v69, v68
	v_mul_f16_e32 v69, 0x3770, v59
	v_add_f16_e32 v23, v23, v54
	v_fmamk_f16 v38, v42, 0xb9fd, v38
	v_add_f16_e32 v22, v24, v22
	v_mad_u32_u24 v24, 0x9c, v10, 0
	v_lshlrev_b32_sdwa v36, v36, v8 dst_sel:DWORD dst_unused:UNUSED_PAD src0_sel:DWORD src1_sel:BYTE_0
	v_fma_f16 v40, v58, 0xbbc4, -v37
	v_fma_f16 v42, v58, 0x3b15, -v69
	v_fma_f16 v76, v58, 0xb9fd, -v76
	v_add_f16_e32 v23, v23, v56
	v_fmamk_f16 v39, v58, 0x3b15, v69
	v_add_f16_e32 v35, v38, v35
	v_fmamk_f16 v37, v58, 0xbbc4, v37
	v_add3_u32 v24, v24, v36, v1
	v_add_f16_e32 v22, v40, v22
	v_add_f16_e32 v34, v42, v34
	;; [unrolled: 1-line block ×5, first 2 shown]
	ds_write_b16 v24, v23
	ds_write_b16 v24, v22 offset:12
	ds_write_b16 v24, v34 offset:24
	;; [unrolled: 1-line block ×12, first 2 shown]
.LBB0_26:
	s_or_b32 exec_lo, exec_lo, s1
	v_lshlrev_b32_e32 v22, 1, v9
	v_add3_u32 v23, 0, v5, v1
	s_waitcnt lgkmcnt(0)
	s_barrier
	buffer_gl0_inv
	v_add3_u32 v22, 0, v22, v1
	ds_read_u16 v5, v18
	ds_read_u16 v37, v22
	;; [unrolled: 1-line block ×5, first 2 shown]
	ds_read_u16 v34, v19 offset:1404
	ds_read_u16 v39, v19 offset:1248
	;; [unrolled: 1-line block ×5, first 2 shown]
	s_waitcnt lgkmcnt(0)
	s_barrier
	buffer_gl0_inv
	s_and_saveexec_b32 s1, s0
	s_cbranch_execz .LBB0_28
; %bb.27:
	v_add_f16_e32 v57, v26, v52
	v_sub_f16_e32 v55, v55, v56
	v_add_f16_e32 v56, v51, v49
	v_add_f16_e32 v52, v52, v50
	v_sub_f16_e32 v53, v53, v54
	v_add_f16_e32 v51, v57, v51
	v_mul_f16_e32 v54, 0xb770, v55
	v_mul_f16_e32 v57, 0xba95, v55
	;; [unrolled: 1-line block ×4, first 2 shown]
	v_add_f16_e32 v51, v51, v45
	v_mul_f16_e32 v60, 0xb94e, v55
	v_mul_f16_e32 v55, 0xb3a8, v55
	;; [unrolled: 1-line block ×4, first 2 shown]
	v_add_f16_e32 v51, v51, v33
	v_fmamk_f16 v65, v52, 0x3b15, v54
	v_fma_f16 v54, v52, 0x3b15, -v54
	v_fmamk_f16 v66, v52, 0x388b, v57
	v_fma_f16 v57, v52, 0x388b, -v57
	v_add_f16_e32 v51, v51, v29
	v_mul_f16_e32 v63, 0xb3a8, v53
	v_mul_f16_e32 v64, 0x394e, v53
	v_fmamk_f16 v67, v52, 0x2fb7, v58
	v_fma_f16 v58, v52, 0x2fb7, -v58
	v_add_f16_e32 v51, v51, v11
	v_fmamk_f16 v68, v52, 0xb5ac, v59
	v_fma_f16 v59, v52, 0xb5ac, -v59
	v_fmamk_f16 v69, v52, 0xb9fd, v60
	v_fma_f16 v60, v52, 0xb9fd, -v60
	v_add_f16_e32 v51, v51, v25
	v_fmamk_f16 v70, v52, 0xbbc4, v55
	v_fma_f16 v52, v52, 0xbbc4, -v55
	;; [unrolled: 5-line block ×3, first 2 shown]
	v_add_f16_e32 v65, v26, v65
	v_add_f16_e32 v54, v26, v54
	;; [unrolled: 1-line block ×17, first 2 shown]
	v_fmamk_f16 v55, v56, 0xbbc4, v63
	v_add_f16_e32 v57, v62, v57
	v_fma_f16 v61, v56, 0xbbc4, -v63
	v_fmamk_f16 v62, v56, 0xb9fd, v64
	v_fma_f16 v63, v56, 0xb9fd, -v64
	v_mul_f16_e32 v64, 0x3bf1, v53
	v_sub_f16_e32 v47, v47, v48
	v_add_f16_e32 v58, v61, v58
	v_add_f16_e32 v61, v62, v68
	v_mul_f16_e32 v53, 0x3770, v53
	v_fma_f16 v62, v56, 0x2fb7, -v64
	v_add_f16_e32 v45, v45, v46
	v_mul_f16_e32 v46, 0xbbf1, v47
	v_add_f16_e32 v59, v63, v59
	v_fmamk_f16 v48, v56, 0x2fb7, v64
	v_fmamk_f16 v63, v56, 0x3b15, v53
	v_fma_f16 v53, v56, 0x3b15, -v53
	v_add_f16_e32 v56, v62, v60
	v_fmamk_f16 v60, v45, 0x2fb7, v46
	v_mul_f16_e32 v62, 0xb3a8, v47
	v_add_f16_e32 v49, v49, v50
	v_add_f16_e32 v50, v71, v66
	;; [unrolled: 1-line block ×4, first 2 shown]
	v_fmamk_f16 v53, v45, 0xbbc4, v62
	v_mul_f16_e32 v60, 0x3b7b, v47
	v_add_f16_e32 v55, v55, v67
	v_fma_f16 v46, v45, 0x2fb7, -v46
	v_sub_f16_e32 v43, v43, v44
	v_add_f16_e32 v50, v53, v50
	v_fmamk_f16 v53, v45, 0xb5ac, v60
	v_add_f16_e32 v48, v48, v69
	v_fma_f16 v62, v45, 0xbbc4, -v62
	v_add_f16_e32 v46, v46, v54
	v_mul_f16_e32 v54, 0x3770, v47
	v_add_f16_e32 v53, v53, v55
	v_mul_f16_e32 v55, 0xba95, v47
	v_mul_f16_e32 v47, 0xb94e, v47
	v_add_f16_e32 v33, v33, v41
	v_mul_f16_e32 v41, 0xbb7b, v43
	v_add_f16_e32 v51, v63, v51
	v_fmamk_f16 v44, v45, 0x388b, v55
	v_fma_f16 v55, v45, 0x388b, -v55
	v_add_f16_e32 v57, v62, v57
	v_fma_f16 v60, v45, 0xb5ac, -v60
	v_fmamk_f16 v62, v45, 0x3b15, v54
	v_fma_f16 v54, v45, 0x3b15, -v54
	v_add_f16_e32 v44, v44, v48
	v_fmamk_f16 v48, v45, 0xb9fd, v47
	v_fma_f16 v45, v45, 0xb9fd, -v47
	v_add_f16_e32 v47, v55, v56
	v_fmamk_f16 v55, v33, 0xb5ac, v41
	v_mul_f16_e32 v56, 0x394e, v43
	v_add_f16_e32 v48, v48, v51
	v_add_f16_e32 v26, v45, v26
	v_fma_f16 v41, v33, 0xb5ac, -v41
	v_add_f16_e32 v45, v55, v52
	v_fmamk_f16 v51, v33, 0xb9fd, v56
	v_mul_f16_e32 v52, 0x3770, v43
	v_sub_f16_e32 v31, v31, v32
	v_add_f16_e32 v41, v41, v46
	v_mul_f16_e32 v46, 0xbbf1, v43
	v_add_f16_e32 v50, v51, v50
	v_fmamk_f16 v51, v33, 0x3b15, v52
	v_add_f16_e32 v29, v29, v30
	v_mul_f16_e32 v30, 0xb94e, v31
	v_fma_f16 v55, v33, 0xb9fd, -v56
	v_fma_f16 v52, v33, 0x3b15, -v52
	v_add_f16_e32 v51, v51, v53
	v_mul_f16_e32 v53, 0x33a8, v43
	v_mul_f16_e32 v43, 0x3a95, v43
	v_fmamk_f16 v56, v33, 0x2fb7, v46
	v_fma_f16 v46, v33, 0x2fb7, -v46
	v_add_f16_e32 v54, v54, v59
	v_fmamk_f16 v32, v33, 0xbbc4, v53
	v_fma_f16 v53, v33, 0xbbc4, -v53
	v_sub_f16_e32 v27, v27, v28
	v_mul_f16_e32 v28, 0xbb7b, v31
	v_add_f16_e32 v46, v46, v54
	v_add_f16_e32 v32, v32, v44
	v_fmamk_f16 v44, v33, 0x388b, v43
	v_add_f16_e32 v47, v53, v47
	v_fma_f16 v33, v33, 0x388b, -v43
	v_fmamk_f16 v43, v29, 0xb9fd, v30
	v_mul_f16_e32 v53, 0x3bf1, v31
	v_add_f16_e32 v44, v44, v48
	v_fma_f16 v30, v29, 0xb9fd, -v30
	v_add_f16_e32 v26, v33, v26
	v_add_f16_e32 v33, v43, v45
	v_fmamk_f16 v43, v29, 0x2fb7, v53
	v_mul_f16_e32 v45, 0xba95, v31
	v_mul_f16_e32 v48, 0x33a8, v31
	v_add_f16_e32 v30, v30, v41
	v_fma_f16 v41, v29, 0x2fb7, -v53
	v_add_f16_e32 v43, v43, v50
	v_fmamk_f16 v50, v29, 0x388b, v45
	v_fmamk_f16 v53, v29, 0xbbc4, v48
	v_fma_f16 v48, v29, 0xbbc4, -v48
	v_add_f16_e32 v11, v11, v25
	v_mul_f16_e32 v25, 0xb3a8, v27
	v_add_f16_e32 v50, v50, v51
	v_mul_f16_e32 v51, 0x3770, v31
	v_add_f16_e32 v58, v60, v58
	v_fma_f16 v45, v29, 0x388b, -v45
	v_add_f16_e32 v46, v48, v46
	v_add_f16_e32 v55, v55, v57
	v_fmamk_f16 v31, v29, 0x3b15, v51
	v_fma_f16 v48, v29, 0x3b15, -v51
	v_fmamk_f16 v51, v29, 0xb5ac, v28
	v_fma_f16 v28, v29, 0xb5ac, -v28
	v_fmamk_f16 v29, v11, 0xbbc4, v25
	v_add_f16_e32 v52, v52, v58
	v_add_f16_e32 v31, v31, v32
	;; [unrolled: 1-line block ×5, first 2 shown]
	v_mul_f16_e32 v29, 0xb94e, v27
	v_add_f16_e32 v45, v45, v52
	v_mul_f16_e32 v47, 0x3770, v27
	v_fma_f16 v25, v11, 0xbbc4, -v25
	v_add_f16_e32 v60, v62, v61
	v_fmamk_f16 v48, v11, 0xb9fd, v29
	v_fma_f16 v29, v11, 0xb9fd, -v29
	v_add_f16_e32 v41, v41, v55
	v_fmamk_f16 v33, v11, 0x3b15, v47
	v_add_f16_e32 v25, v25, v30
	v_mul_f16_e32 v30, 0x3a95, v27
	v_fma_f16 v47, v11, 0x3b15, -v47
	v_add_f16_e32 v29, v29, v45
	v_mov_b32_e32 v45, 1
	v_add_f16_e32 v56, v56, v60
	v_add_f16_e32 v33, v33, v43
	v_fmamk_f16 v43, v11, 0x388b, v30
	v_add_f16_e32 v41, v47, v41
	v_add_f16_e32 v47, v48, v50
	v_fma_f16 v30, v11, 0x388b, -v30
	v_mul_f16_e32 v48, 0xbb7b, v27
	v_mul_f16_e32 v27, 0x3bf1, v27
	v_mad_u32_u24 v10, 0x9c, v10, 0
	v_lshlrev_b32_sdwa v8, v45, v8 dst_sel:DWORD dst_unused:UNUSED_PAD src0_sel:DWORD src1_sel:BYTE_0
	v_add_f16_e32 v52, v53, v56
	v_add_f16_e32 v44, v51, v44
	;; [unrolled: 1-line block ×3, first 2 shown]
	v_fmamk_f16 v45, v11, 0xb5ac, v48
	v_fma_f16 v46, v11, 0xb5ac, -v48
	v_fmamk_f16 v48, v11, 0x2fb7, v27
	v_fma_f16 v11, v11, 0x2fb7, -v27
	v_add3_u32 v1, v10, v8, v1
	v_add_f16_e32 v43, v43, v52
	v_add_f16_e32 v8, v45, v31
	;; [unrolled: 1-line block ×5, first 2 shown]
	ds_write_b16 v1, v49
	ds_write_b16 v1, v28 offset:12
	ds_write_b16 v1, v33 offset:24
	ds_write_b16 v1, v47 offset:36
	ds_write_b16 v1, v43 offset:48
	ds_write_b16 v1, v8 offset:60
	ds_write_b16 v1, v27 offset:72
	ds_write_b16 v1, v11 offset:84
	ds_write_b16 v1, v10 offset:96
	ds_write_b16 v1, v30 offset:108
	ds_write_b16 v1, v29 offset:120
	ds_write_b16 v1, v41 offset:132
	ds_write_b16 v1, v25 offset:144
.LBB0_28:
	s_or_b32 exec_lo, exec_lo, s1
	v_lshlrev_b32_e32 v10, 2, v0
	v_mov_b32_e32 v11, 0
	s_waitcnt lgkmcnt(0)
	s_barrier
	buffer_gl0_inv
	v_lshlrev_b64 v[25:26], 2, v[10:11]
	v_add_co_u32 v25, s0, s8, v25
	v_add_co_ci_u32_e64 v26, s0, s9, v26, s0
	global_load_dwordx4 v[25:28], v[25:26], off offset:304
	ds_read_u16 v1, v21
	ds_read_u16 v8, v22
	ds_read_u16 v10, v19 offset:936
	ds_read_u16 v29, v19 offset:1248
	ds_read_u16 v30, v23
	ds_read_u16 v31, v19 offset:1404
	ds_read_u16 v32, v19 offset:1092
	;; [unrolled: 1-line block ×3, first 2 shown]
	ds_read_u16 v41, v18
	ds_read_u16 v43, v20
	s_waitcnt vmcnt(0) lgkmcnt(0)
	s_barrier
	buffer_gl0_inv
	v_mul_f16_sdwa v44, v1, v25 dst_sel:DWORD dst_unused:UNUSED_PAD src0_sel:DWORD src1_sel:WORD_1
	v_mul_f16_sdwa v45, v40, v25 dst_sel:DWORD dst_unused:UNUSED_PAD src0_sel:DWORD src1_sel:WORD_1
	;; [unrolled: 1-line block ×16, first 2 shown]
	v_fma_f16 v40, v40, v25, -v44
	v_fmac_f16_e32 v45, v1, v25
	v_fma_f16 v1, v37, v26, -v46
	v_fmac_f16_e32 v47, v8, v26
	;; [unrolled: 2-line block ×8, first 2 shown]
	v_add_f16_e32 v28, v5, v40
	v_add_f16_e32 v30, v1, v8
	;; [unrolled: 1-line block ×3, first 2 shown]
	v_sub_f16_e32 v33, v40, v1
	v_sub_f16_e32 v34, v10, v8
	v_add_f16_e32 v38, v41, v45
	v_add_f16_e32 v52, v24, v29
	;; [unrolled: 1-line block ×4, first 2 shown]
	v_sub_f16_e32 v31, v45, v51
	v_sub_f16_e32 v36, v1, v40
	;; [unrolled: 1-line block ×3, first 2 shown]
	v_add_f16_e32 v1, v28, v1
	v_fma_f16 v28, -0.5, v30, v5
	v_sub_f16_e32 v32, v47, v49
	v_sub_f16_e32 v37, v8, v10
	;; [unrolled: 1-line block ×3, first 2 shown]
	v_add_f16_e32 v48, v45, v51
	v_sub_f16_e32 v45, v47, v45
	v_sub_f16_e32 v50, v49, v51
	v_fmac_f16_e32 v5, -0.5, v35
	v_add_f16_e32 v39, v47, v49
	v_sub_f16_e32 v56, v53, v59
	v_sub_f16_e32 v58, v55, v57
	;; [unrolled: 1-line block ×4, first 2 shown]
	v_add_f16_e32 v65, v43, v53
	v_sub_f16_e32 v67, v25, v26
	v_sub_f16_e32 v68, v53, v55
	v_add_f16_e32 v70, v53, v59
	v_sub_f16_e32 v53, v55, v53
	v_sub_f16_e32 v71, v57, v59
	v_add_f16_e32 v30, v33, v34
	v_add_f16_e32 v34, v38, v47
	;; [unrolled: 1-line block ×3, first 2 shown]
	v_fma_f16 v38, -0.5, v54, v24
	v_fmac_f16_e32 v24, -0.5, v62
	v_sub_f16_e32 v46, v51, v49
	v_add_f16_e32 v66, v55, v57
	v_add_f16_e32 v1, v1, v8
	v_fmamk_f16 v8, v31, 0x3b9c, v28
	v_add_f16_e32 v33, v36, v37
	v_add_f16_e32 v37, v45, v50
	v_fmamk_f16 v50, v32, 0xbb9c, v5
	v_sub_f16_e32 v61, v27, v26
	v_sub_f16_e32 v64, v26, v27
	v_fma_f16 v35, -0.5, v39, v41
	v_fmac_f16_e32 v41, -0.5, v48
	v_add_f16_e32 v48, v53, v71
	v_fmac_f16_e32 v28, 0xbb9c, v31
	v_fmac_f16_e32 v5, 0x3b9c, v32
	v_add_f16_e32 v25, v25, v26
	v_fmamk_f16 v26, v56, 0x3b9c, v38
	v_fmamk_f16 v53, v58, 0xbb9c, v24
	v_fmac_f16_e32 v24, 0x3b9c, v58
	v_add_f16_e32 v36, v44, v46
	v_fma_f16 v46, -0.5, v66, v43
	v_fmac_f16_e32 v43, -0.5, v70
	v_fmac_f16_e32 v38, 0xbb9c, v56
	v_fmac_f16_e32 v8, 0x38b4, v32
	;; [unrolled: 1-line block ×3, first 2 shown]
	v_add_f16_e32 v39, v60, v61
	v_add_f16_e32 v44, v63, v64
	v_fmac_f16_e32 v28, 0xb8b4, v32
	v_fmac_f16_e32 v5, 0xb8b4, v31
	;; [unrolled: 1-line block ×4, first 2 shown]
	v_sub_f16_e32 v29, v29, v27
	v_add_f16_e32 v45, v65, v55
	v_fmamk_f16 v55, v67, 0x3b9c, v43
	v_fmac_f16_e32 v43, 0xbb9c, v67
	v_add_f16_e32 v1, v1, v10
	v_fmac_f16_e32 v38, 0xb8b4, v58
	v_fmac_f16_e32 v53, 0x38b4, v56
	v_add_f16_e32 v25, v25, v27
	v_fmac_f16_e32 v8, 0x34f2, v30
	v_fmac_f16_e32 v50, 0x34f2, v33
	;; [unrolled: 1-line block ×6, first 2 shown]
	v_fmamk_f16 v54, v29, 0xbb9c, v46
	v_fmac_f16_e32 v46, 0x3b9c, v29
	v_fmac_f16_e32 v55, 0xb8b4, v29
	;; [unrolled: 1-line block ×5, first 2 shown]
	ds_write_b16 v19, v1
	ds_write_b16 v19, v25 offset:780
	ds_write_b16 v19, v8 offset:156
	;; [unrolled: 1-line block ×9, first 2 shown]
	s_waitcnt lgkmcnt(0)
	s_barrier
	buffer_gl0_inv
	ds_read_u16 v25, v21
	ds_read_u16 v24, v18
	ds_read_u16 v29, v19 offset:780
	ds_read_u16 v30, v19 offset:936
	;; [unrolled: 1-line block ×4, first 2 shown]
	ds_read_u16 v27, v23
	ds_read_u16 v28, v22
	;; [unrolled: 1-line block ×3, first 2 shown]
	ds_read_u16 v33, v19 offset:1404
	v_sub_f16_e32 v40, v40, v10
	v_add_f16_e32 v34, v34, v49
	v_fmamk_f16 v52, v42, 0x3b9c, v41
	v_fmac_f16_e32 v41, 0xbb9c, v42
	v_sub_f16_e32 v69, v59, v57
	v_fmamk_f16 v49, v40, 0xbb9c, v35
	v_fmac_f16_e32 v35, 0x3b9c, v40
	v_fmac_f16_e32 v52, 0xb8b4, v40
	;; [unrolled: 1-line block ×3, first 2 shown]
	v_add_f16_e32 v47, v68, v69
	v_fmac_f16_e32 v49, 0xb8b4, v42
	v_fmac_f16_e32 v35, 0x38b4, v42
	v_add_f16_e32 v45, v45, v57
	v_add_f16_e32 v10, v34, v51
	v_fmac_f16_e32 v54, 0xb8b4, v67
	v_fmac_f16_e32 v46, 0x38b4, v67
	;; [unrolled: 1-line block ×6, first 2 shown]
	v_add_f16_e32 v34, v45, v59
	v_fmac_f16_e32 v54, 0x34f2, v47
	v_fmac_f16_e32 v46, 0x34f2, v47
	;; [unrolled: 1-line block ×4, first 2 shown]
	s_waitcnt lgkmcnt(0)
	s_barrier
	buffer_gl0_inv
	ds_write_b16 v19, v10
	ds_write_b16 v19, v49 offset:156
	ds_write_b16 v19, v52 offset:312
	ds_write_b16 v19, v41 offset:468
	ds_write_b16 v19, v35 offset:624
	ds_write_b16 v19, v34 offset:780
	ds_write_b16 v19, v54 offset:936
	ds_write_b16 v19, v55 offset:1092
	ds_write_b16 v19, v43 offset:1248
	ds_write_b16 v19, v46 offset:1404
	s_waitcnt lgkmcnt(0)
	s_barrier
	buffer_gl0_inv
	s_and_saveexec_b32 s0, vcc_lo
	s_cbranch_execz .LBB0_30
; %bb.29:
	v_mov_b32_e32 v10, v11
	v_mov_b32_e32 v8, v11
	;; [unrolled: 1-line block ×4, first 2 shown]
	v_lshlrev_b64 v[9:10], 2, v[9:10]
	v_lshlrev_b64 v[7:8], 2, v[7:8]
	;; [unrolled: 1-line block ×3, first 2 shown]
	v_add_co_u32 v9, vcc_lo, s8, v9
	v_add_co_ci_u32_e32 v10, vcc_lo, s9, v10, vcc_lo
	v_add_co_u32 v34, vcc_lo, s8, v7
	v_mov_b32_e32 v7, v11
	v_add_co_ci_u32_e32 v35, vcc_lo, s9, v8, vcc_lo
	s_clause 0x1
	global_load_dword v38, v[9:10], off offset:1552
	global_load_dword v39, v[34:35], off offset:1552
	v_lshlrev_b64 v[6:7], 2, v[6:7]
	v_add_co_u32 v4, vcc_lo, s8, v4
	v_lshlrev_b64 v[8:9], 2, v[0:1]
	v_add_co_ci_u32_e32 v5, vcc_lo, s9, v5, vcc_lo
	v_add_co_u32 v6, vcc_lo, s8, v6
	v_add_co_ci_u32_e32 v7, vcc_lo, s9, v7, vcc_lo
	v_add_co_u32 v8, vcc_lo, s8, v8
	v_add_co_ci_u32_e32 v9, vcc_lo, s9, v9, vcc_lo
	s_clause 0x2
	global_load_dword v40, v[4:5], off offset:1552
	global_load_dword v41, v[6:7], off offset:1552
	;; [unrolled: 1-line block ×3, first 2 shown]
	v_mad_u64_u32 v[4:5], null, s2, v0, 0
	v_lshrrev_b32_e32 v1, 1, v12
	ds_read_u16 v43, v22
	ds_read_u16 v44, v23
	;; [unrolled: 1-line block ×4, first 2 shown]
	v_mad_u64_u32 v[6:7], null, s2, v17, 0
	v_lshrrev_b32_e32 v20, 1, v13
	v_mul_hi_u32 v22, 0xa80a80a9, v1
	v_mad_u64_u32 v[8:9], null, s2, v15, 0
	v_lshrrev_b32_e32 v21, 1, v14
	v_mad_u64_u32 v[10:11], null, s2, v16, 0
	v_mul_hi_u32 v20, 0xa80a80a9, v20
	v_mov_b32_e32 v1, v5
	v_mov_b32_e32 v5, v7
	v_mul_hi_u32 v21, 0xa80a80a9, v21
	v_mov_b32_e32 v7, v9
	ds_read_u16 v47, v19 offset:1404
	ds_read_u16 v48, v19 offset:1248
	ds_read_u16 v49, v19 offset:1092
	ds_read_u16 v50, v19 offset:936
	ds_read_u16 v51, v19 offset:780
	ds_read_u16 v52, v18
	v_mad_u64_u32 v[0:1], null, s3, v0, v[1:2]
	v_lshrrev_b32_e32 v1, 7, v22
	v_mov_b32_e32 v9, v11
	v_mad_u64_u32 v[17:18], null, s3, v17, v[5:6]
	v_lshrrev_b32_e32 v5, 7, v20
	v_mad_u32_u24 v20, 0x186, v1, v12
	v_mad_u64_u32 v[18:19], null, s3, v15, v[7:8]
	v_lshrrev_b32_e32 v7, 7, v21
	v_mad_u64_u32 v[15:16], null, s3, v16, v[9:10]
	v_mad_u32_u24 v22, 0x186, v5, v13
	v_mov_b32_e32 v5, v0
	v_add_co_u32 v53, vcc_lo, s12, v2
	v_add_nc_u32_e32 v34, 0x186, v20
	v_mad_u32_u24 v23, 0x186, v7, v14
	v_add_co_ci_u32_e32 v54, vcc_lo, s13, v3, vcc_lo
	v_mad_u64_u32 v[0:1], null, s2, v20, 0
	v_mad_u64_u32 v[2:3], null, s2, v22, 0
	v_lshlrev_b64 v[4:5], 2, v[4:5]
	v_add_nc_u32_e32 v36, 0x186, v22
	v_mov_b32_e32 v11, v15
	v_mad_u64_u32 v[14:15], null, s2, v34, 0
	v_add_nc_u32_e32 v37, 0x186, v23
	v_mov_b32_e32 v7, v17
	v_mad_u64_u32 v[12:13], null, s2, v23, 0
	v_mad_u64_u32 v[16:17], null, s2, v36, 0
	v_add_co_u32 v4, vcc_lo, v53, v4
	v_mad_u64_u32 v[20:21], null, s3, v20, v[1:2]
	v_mov_b32_e32 v9, v18
	v_mad_u64_u32 v[18:19], null, s2, v37, 0
	v_mov_b32_e32 v1, v15
	v_mad_u64_u32 v[21:22], null, s3, v22, v[3:4]
	v_lshlrev_b64 v[6:7], 2, v[6:7]
	v_mov_b32_e32 v3, v17
	v_mad_u64_u32 v[22:23], null, s3, v23, v[13:14]
	v_lshlrev_b64 v[8:9], 2, v[8:9]
	v_mad_u64_u32 v[34:35], null, s3, v34, v[1:2]
	v_mov_b32_e32 v1, v20
	v_add_co_ci_u32_e32 v5, vcc_lo, v54, v5, vcc_lo
	v_mov_b32_e32 v13, v19
	v_lshlrev_b64 v[10:11], 2, v[10:11]
	v_add_co_u32 v6, vcc_lo, v53, v6
	v_mad_u64_u32 v[35:36], null, s3, v36, v[3:4]
	v_mov_b32_e32 v3, v21
	v_add_co_ci_u32_e32 v7, vcc_lo, v54, v7, vcc_lo
	v_add_co_u32 v8, vcc_lo, v53, v8
	v_lshlrev_b64 v[0:1], 2, v[0:1]
	v_mad_u64_u32 v[36:37], null, s3, v37, v[13:14]
	v_mov_b32_e32 v13, v22
	v_add_co_ci_u32_e32 v9, vcc_lo, v54, v9, vcc_lo
	v_add_co_u32 v10, vcc_lo, v53, v10
	v_lshlrev_b64 v[2:3], 2, v[2:3]
	v_mov_b32_e32 v15, v34
	v_add_co_ci_u32_e32 v11, vcc_lo, v54, v11, vcc_lo
	v_lshlrev_b64 v[12:13], 2, v[12:13]
	v_add_co_u32 v0, vcc_lo, v53, v0
	v_mov_b32_e32 v17, v35
	v_add_co_ci_u32_e32 v1, vcc_lo, v54, v1, vcc_lo
	v_lshlrev_b64 v[14:15], 2, v[14:15]
	v_add_co_u32 v2, vcc_lo, v53, v2
	v_mov_b32_e32 v19, v36
	v_add_co_ci_u32_e32 v3, vcc_lo, v54, v3, vcc_lo
	v_lshlrev_b64 v[16:17], 2, v[16:17]
	v_add_co_u32 v12, vcc_lo, v53, v12
	v_add_co_ci_u32_e32 v13, vcc_lo, v54, v13, vcc_lo
	v_lshlrev_b64 v[18:19], 2, v[18:19]
	v_add_co_u32 v14, vcc_lo, v53, v14
	v_add_co_ci_u32_e32 v15, vcc_lo, v54, v15, vcc_lo
	v_add_co_u32 v16, vcc_lo, v53, v16
	v_add_co_ci_u32_e32 v17, vcc_lo, v54, v17, vcc_lo
	;; [unrolled: 2-line block ×3, first 2 shown]
	s_waitcnt vmcnt(4) lgkmcnt(5)
	v_mul_f16_sdwa v20, v47, v38 dst_sel:DWORD dst_unused:UNUSED_PAD src0_sel:DWORD src1_sel:WORD_1
	v_mul_f16_sdwa v21, v33, v38 dst_sel:DWORD dst_unused:UNUSED_PAD src0_sel:DWORD src1_sel:WORD_1
	s_waitcnt vmcnt(3) lgkmcnt(4)
	v_mul_f16_sdwa v22, v48, v39 dst_sel:DWORD dst_unused:UNUSED_PAD src0_sel:DWORD src1_sel:WORD_1
	v_mul_f16_sdwa v23, v32, v39 dst_sel:DWORD dst_unused:UNUSED_PAD src0_sel:DWORD src1_sel:WORD_1
	v_fma_f16 v20, v33, v38, -v20
	v_fmac_f16_e32 v21, v38, v47
	v_fma_f16 v22, v32, v39, -v22
	v_fmac_f16_e32 v23, v39, v48
	v_sub_f16_e32 v20, v28, v20
	v_sub_f16_e32 v21, v43, v21
	;; [unrolled: 1-line block ×4, first 2 shown]
	s_waitcnt vmcnt(2) lgkmcnt(3)
	v_mul_f16_sdwa v34, v49, v40 dst_sel:DWORD dst_unused:UNUSED_PAD src0_sel:DWORD src1_sel:WORD_1
	s_waitcnt vmcnt(1) lgkmcnt(2)
	v_mul_f16_sdwa v36, v50, v41 dst_sel:DWORD dst_unused:UNUSED_PAD src0_sel:DWORD src1_sel:WORD_1
	;; [unrolled: 2-line block ×3, first 2 shown]
	v_mul_f16_sdwa v54, v29, v42 dst_sel:DWORD dst_unused:UNUSED_PAD src0_sel:DWORD src1_sel:WORD_1
	v_mul_f16_sdwa v37, v30, v41 dst_sel:DWORD dst_unused:UNUSED_PAD src0_sel:DWORD src1_sel:WORD_1
	;; [unrolled: 1-line block ×3, first 2 shown]
	v_fma_f16 v30, v30, v41, -v36
	v_fma_f16 v29, v29, v42, -v53
	v_fmac_f16_e32 v54, v42, v51
	v_fmac_f16_e32 v37, v41, v50
	v_fma_f16 v31, v31, v40, -v34
	v_fmac_f16_e32 v35, v40, v49
	v_sub_f16_e32 v29, v24, v29
	s_waitcnt lgkmcnt(0)
	v_sub_f16_e32 v34, v52, v54
	v_sub_f16_e32 v30, v26, v30
	;; [unrolled: 1-line block ×5, first 2 shown]
	v_fma_f16 v24, v24, 2.0, -v29
	v_fma_f16 v39, v52, 2.0, -v34
	;; [unrolled: 1-line block ×10, first 2 shown]
	v_pack_b32_f16 v20, v20, v21
	v_pack_b32_f16 v21, v24, v39
	;; [unrolled: 1-line block ×10, first 2 shown]
	global_store_dword v[4:5], v21, off
	global_store_dword v[6:7], v29, off
	;; [unrolled: 1-line block ×10, first 2 shown]
.LBB0_30:
	s_endpgm
	.section	.rodata,"a",@progbits
	.p2align	6, 0x0
	.amdhsa_kernel fft_rtc_fwd_len780_factors_2_3_13_5_2_wgs_234_tpt_78_halfLds_half_ip_CI_sbrr_dirReg
		.amdhsa_group_segment_fixed_size 0
		.amdhsa_private_segment_fixed_size 0
		.amdhsa_kernarg_size 88
		.amdhsa_user_sgpr_count 6
		.amdhsa_user_sgpr_private_segment_buffer 1
		.amdhsa_user_sgpr_dispatch_ptr 0
		.amdhsa_user_sgpr_queue_ptr 0
		.amdhsa_user_sgpr_kernarg_segment_ptr 1
		.amdhsa_user_sgpr_dispatch_id 0
		.amdhsa_user_sgpr_flat_scratch_init 0
		.amdhsa_user_sgpr_private_segment_size 0
		.amdhsa_wavefront_size32 1
		.amdhsa_uses_dynamic_stack 0
		.amdhsa_system_sgpr_private_segment_wavefront_offset 0
		.amdhsa_system_sgpr_workgroup_id_x 1
		.amdhsa_system_sgpr_workgroup_id_y 0
		.amdhsa_system_sgpr_workgroup_id_z 0
		.amdhsa_system_sgpr_workgroup_info 0
		.amdhsa_system_vgpr_workitem_id 0
		.amdhsa_next_free_vgpr 85
		.amdhsa_next_free_sgpr 23
		.amdhsa_reserve_vcc 1
		.amdhsa_reserve_flat_scratch 0
		.amdhsa_float_round_mode_32 0
		.amdhsa_float_round_mode_16_64 0
		.amdhsa_float_denorm_mode_32 3
		.amdhsa_float_denorm_mode_16_64 3
		.amdhsa_dx10_clamp 1
		.amdhsa_ieee_mode 1
		.amdhsa_fp16_overflow 0
		.amdhsa_workgroup_processor_mode 1
		.amdhsa_memory_ordered 1
		.amdhsa_forward_progress 0
		.amdhsa_shared_vgpr_count 0
		.amdhsa_exception_fp_ieee_invalid_op 0
		.amdhsa_exception_fp_denorm_src 0
		.amdhsa_exception_fp_ieee_div_zero 0
		.amdhsa_exception_fp_ieee_overflow 0
		.amdhsa_exception_fp_ieee_underflow 0
		.amdhsa_exception_fp_ieee_inexact 0
		.amdhsa_exception_int_div_zero 0
	.end_amdhsa_kernel
	.text
.Lfunc_end0:
	.size	fft_rtc_fwd_len780_factors_2_3_13_5_2_wgs_234_tpt_78_halfLds_half_ip_CI_sbrr_dirReg, .Lfunc_end0-fft_rtc_fwd_len780_factors_2_3_13_5_2_wgs_234_tpt_78_halfLds_half_ip_CI_sbrr_dirReg
                                        ; -- End function
	.section	.AMDGPU.csdata,"",@progbits
; Kernel info:
; codeLenInByte = 10100
; NumSgprs: 25
; NumVgprs: 85
; ScratchSize: 0
; MemoryBound: 0
; FloatMode: 240
; IeeeMode: 1
; LDSByteSize: 0 bytes/workgroup (compile time only)
; SGPRBlocks: 3
; VGPRBlocks: 10
; NumSGPRsForWavesPerEU: 25
; NumVGPRsForWavesPerEU: 85
; Occupancy: 10
; WaveLimiterHint : 1
; COMPUTE_PGM_RSRC2:SCRATCH_EN: 0
; COMPUTE_PGM_RSRC2:USER_SGPR: 6
; COMPUTE_PGM_RSRC2:TRAP_HANDLER: 0
; COMPUTE_PGM_RSRC2:TGID_X_EN: 1
; COMPUTE_PGM_RSRC2:TGID_Y_EN: 0
; COMPUTE_PGM_RSRC2:TGID_Z_EN: 0
; COMPUTE_PGM_RSRC2:TIDIG_COMP_CNT: 0
	.text
	.p2alignl 6, 3214868480
	.fill 48, 4, 3214868480
	.type	__hip_cuid_4fa4b4a7ef22ba56,@object ; @__hip_cuid_4fa4b4a7ef22ba56
	.section	.bss,"aw",@nobits
	.globl	__hip_cuid_4fa4b4a7ef22ba56
__hip_cuid_4fa4b4a7ef22ba56:
	.byte	0                               ; 0x0
	.size	__hip_cuid_4fa4b4a7ef22ba56, 1

	.ident	"AMD clang version 19.0.0git (https://github.com/RadeonOpenCompute/llvm-project roc-6.4.0 25133 c7fe45cf4b819c5991fe208aaa96edf142730f1d)"
	.section	".note.GNU-stack","",@progbits
	.addrsig
	.addrsig_sym __hip_cuid_4fa4b4a7ef22ba56
	.amdgpu_metadata
---
amdhsa.kernels:
  - .args:
      - .actual_access:  read_only
        .address_space:  global
        .offset:         0
        .size:           8
        .value_kind:     global_buffer
      - .offset:         8
        .size:           8
        .value_kind:     by_value
      - .actual_access:  read_only
        .address_space:  global
        .offset:         16
        .size:           8
        .value_kind:     global_buffer
      - .actual_access:  read_only
        .address_space:  global
        .offset:         24
        .size:           8
        .value_kind:     global_buffer
      - .offset:         32
        .size:           8
        .value_kind:     by_value
      - .actual_access:  read_only
        .address_space:  global
        .offset:         40
        .size:           8
        .value_kind:     global_buffer
      - .actual_access:  read_only
        .address_space:  global
        .offset:         48
        .size:           8
        .value_kind:     global_buffer
      - .offset:         56
        .size:           4
        .value_kind:     by_value
      - .actual_access:  read_only
        .address_space:  global
        .offset:         64
        .size:           8
        .value_kind:     global_buffer
      - .actual_access:  read_only
        .address_space:  global
        .offset:         72
        .size:           8
        .value_kind:     global_buffer
      - .address_space:  global
        .offset:         80
        .size:           8
        .value_kind:     global_buffer
    .group_segment_fixed_size: 0
    .kernarg_segment_align: 8
    .kernarg_segment_size: 88
    .language:       OpenCL C
    .language_version:
      - 2
      - 0
    .max_flat_workgroup_size: 234
    .name:           fft_rtc_fwd_len780_factors_2_3_13_5_2_wgs_234_tpt_78_halfLds_half_ip_CI_sbrr_dirReg
    .private_segment_fixed_size: 0
    .sgpr_count:     25
    .sgpr_spill_count: 0
    .symbol:         fft_rtc_fwd_len780_factors_2_3_13_5_2_wgs_234_tpt_78_halfLds_half_ip_CI_sbrr_dirReg.kd
    .uniform_work_group_size: 1
    .uses_dynamic_stack: false
    .vgpr_count:     85
    .vgpr_spill_count: 0
    .wavefront_size: 32
    .workgroup_processor_mode: 1
amdhsa.target:   amdgcn-amd-amdhsa--gfx1030
amdhsa.version:
  - 1
  - 2
...

	.end_amdgpu_metadata
